;; amdgpu-corpus repo=ROCm/rocFFT kind=compiled arch=gfx906 opt=O3
	.text
	.amdgcn_target "amdgcn-amd-amdhsa--gfx906"
	.amdhsa_code_object_version 6
	.protected	fft_rtc_fwd_len91_factors_7_13_wgs_247_tpt_13_half_ip_CI_sbrr_dirReg ; -- Begin function fft_rtc_fwd_len91_factors_7_13_wgs_247_tpt_13_half_ip_CI_sbrr_dirReg
	.globl	fft_rtc_fwd_len91_factors_7_13_wgs_247_tpt_13_half_ip_CI_sbrr_dirReg
	.p2align	8
	.type	fft_rtc_fwd_len91_factors_7_13_wgs_247_tpt_13_half_ip_CI_sbrr_dirReg,@function
fft_rtc_fwd_len91_factors_7_13_wgs_247_tpt_13_half_ip_CI_sbrr_dirReg: ; @fft_rtc_fwd_len91_factors_7_13_wgs_247_tpt_13_half_ip_CI_sbrr_dirReg
; %bb.0:
	s_load_dwordx2 s[14:15], s[4:5], 0x18
	s_load_dwordx4 s[8:11], s[4:5], 0x0
	s_load_dwordx2 s[12:13], s[4:5], 0x50
	v_mul_u32_u24_e32 v1, 0x13b2, v0
	v_lshrrev_b32_e32 v1, 16, v1
	s_waitcnt lgkmcnt(0)
	s_load_dwordx2 s[2:3], s[14:15], 0x0
	v_mad_u64_u32 v[1:2], s[0:1], s6, 19, v[1:2]
	v_mov_b32_e32 v5, 0
	v_cmp_lt_u64_e64 s[0:1], s[10:11], 2
	v_mov_b32_e32 v2, v5
	v_mov_b32_e32 v3, 0
	;; [unrolled: 1-line block ×3, first 2 shown]
	s_and_b64 vcc, exec, s[0:1]
	v_mov_b32_e32 v4, 0
	v_mov_b32_e32 v9, v1
	s_cbranch_vccnz .LBB0_8
; %bb.1:
	s_load_dwordx2 s[0:1], s[4:5], 0x10
	s_add_u32 s6, s14, 8
	s_addc_u32 s7, s15, 0
	v_mov_b32_e32 v3, 0
	v_mov_b32_e32 v8, v2
	s_waitcnt lgkmcnt(0)
	s_add_u32 s18, s0, 8
	s_mov_b64 s[16:17], 1
	v_mov_b32_e32 v4, 0
	s_addc_u32 s19, s1, 0
	v_mov_b32_e32 v7, v1
.LBB0_2:                                ; =>This Inner Loop Header: Depth=1
	s_load_dwordx2 s[20:21], s[18:19], 0x0
                                        ; implicit-def: $vgpr9_vgpr10
	s_waitcnt lgkmcnt(0)
	v_or_b32_e32 v6, s21, v8
	v_cmp_ne_u64_e32 vcc, 0, v[5:6]
	s_and_saveexec_b64 s[0:1], vcc
	s_xor_b64 s[22:23], exec, s[0:1]
	s_cbranch_execz .LBB0_4
; %bb.3:                                ;   in Loop: Header=BB0_2 Depth=1
	v_cvt_f32_u32_e32 v2, s20
	v_cvt_f32_u32_e32 v6, s21
	s_sub_u32 s0, 0, s20
	s_subb_u32 s1, 0, s21
	v_mac_f32_e32 v2, 0x4f800000, v6
	v_rcp_f32_e32 v2, v2
	v_mul_f32_e32 v2, 0x5f7ffffc, v2
	v_mul_f32_e32 v6, 0x2f800000, v2
	v_trunc_f32_e32 v6, v6
	v_mac_f32_e32 v2, 0xcf800000, v6
	v_cvt_u32_f32_e32 v6, v6
	v_cvt_u32_f32_e32 v2, v2
	v_mul_lo_u32 v9, s0, v6
	v_mul_hi_u32 v10, s0, v2
	v_mul_lo_u32 v12, s1, v2
	v_mul_lo_u32 v11, s0, v2
	v_add_u32_e32 v9, v10, v9
	v_add_u32_e32 v9, v9, v12
	v_mul_hi_u32 v10, v2, v11
	v_mul_lo_u32 v12, v2, v9
	v_mul_hi_u32 v14, v2, v9
	v_mul_hi_u32 v13, v6, v11
	v_mul_lo_u32 v11, v6, v11
	v_mul_hi_u32 v15, v6, v9
	v_add_co_u32_e32 v10, vcc, v10, v12
	v_addc_co_u32_e32 v12, vcc, 0, v14, vcc
	v_mul_lo_u32 v9, v6, v9
	v_add_co_u32_e32 v10, vcc, v10, v11
	v_addc_co_u32_e32 v10, vcc, v12, v13, vcc
	v_addc_co_u32_e32 v11, vcc, 0, v15, vcc
	v_add_co_u32_e32 v9, vcc, v10, v9
	v_addc_co_u32_e32 v10, vcc, 0, v11, vcc
	v_add_co_u32_e32 v2, vcc, v2, v9
	v_addc_co_u32_e32 v6, vcc, v6, v10, vcc
	v_mul_lo_u32 v9, s0, v6
	v_mul_hi_u32 v10, s0, v2
	v_mul_lo_u32 v11, s1, v2
	v_mul_lo_u32 v12, s0, v2
	v_add_u32_e32 v9, v10, v9
	v_add_u32_e32 v9, v9, v11
	v_mul_lo_u32 v13, v2, v9
	v_mul_hi_u32 v14, v2, v12
	v_mul_hi_u32 v15, v2, v9
	;; [unrolled: 1-line block ×3, first 2 shown]
	v_mul_lo_u32 v12, v6, v12
	v_mul_hi_u32 v10, v6, v9
	v_add_co_u32_e32 v13, vcc, v14, v13
	v_addc_co_u32_e32 v14, vcc, 0, v15, vcc
	v_mul_lo_u32 v9, v6, v9
	v_add_co_u32_e32 v12, vcc, v13, v12
	v_addc_co_u32_e32 v11, vcc, v14, v11, vcc
	v_addc_co_u32_e32 v10, vcc, 0, v10, vcc
	v_add_co_u32_e32 v9, vcc, v11, v9
	v_addc_co_u32_e32 v10, vcc, 0, v10, vcc
	v_add_co_u32_e32 v2, vcc, v2, v9
	v_addc_co_u32_e32 v6, vcc, v6, v10, vcc
	v_mad_u64_u32 v[9:10], s[0:1], v7, v6, 0
	v_mul_hi_u32 v11, v7, v2
	v_add_co_u32_e32 v13, vcc, v11, v9
	v_addc_co_u32_e32 v14, vcc, 0, v10, vcc
	v_mad_u64_u32 v[9:10], s[0:1], v8, v2, 0
	v_mad_u64_u32 v[11:12], s[0:1], v8, v6, 0
	v_add_co_u32_e32 v2, vcc, v13, v9
	v_addc_co_u32_e32 v2, vcc, v14, v10, vcc
	v_addc_co_u32_e32 v6, vcc, 0, v12, vcc
	v_add_co_u32_e32 v2, vcc, v2, v11
	v_addc_co_u32_e32 v6, vcc, 0, v6, vcc
	v_mul_lo_u32 v11, s21, v2
	v_mul_lo_u32 v12, s20, v6
	v_mad_u64_u32 v[9:10], s[0:1], s20, v2, 0
	v_add3_u32 v10, v10, v12, v11
	v_sub_u32_e32 v11, v8, v10
	v_mov_b32_e32 v12, s21
	v_sub_co_u32_e32 v9, vcc, v7, v9
	v_subb_co_u32_e64 v11, s[0:1], v11, v12, vcc
	v_subrev_co_u32_e64 v12, s[0:1], s20, v9
	v_subbrev_co_u32_e64 v11, s[0:1], 0, v11, s[0:1]
	v_cmp_le_u32_e64 s[0:1], s21, v11
	v_cndmask_b32_e64 v13, 0, -1, s[0:1]
	v_cmp_le_u32_e64 s[0:1], s20, v12
	v_cndmask_b32_e64 v12, 0, -1, s[0:1]
	v_cmp_eq_u32_e64 s[0:1], s21, v11
	v_cndmask_b32_e64 v11, v13, v12, s[0:1]
	v_add_co_u32_e64 v12, s[0:1], 2, v2
	v_addc_co_u32_e64 v13, s[0:1], 0, v6, s[0:1]
	v_add_co_u32_e64 v14, s[0:1], 1, v2
	v_addc_co_u32_e64 v15, s[0:1], 0, v6, s[0:1]
	v_subb_co_u32_e32 v10, vcc, v8, v10, vcc
	v_cmp_ne_u32_e64 s[0:1], 0, v11
	v_cmp_le_u32_e32 vcc, s21, v10
	v_cndmask_b32_e64 v11, v15, v13, s[0:1]
	v_cndmask_b32_e64 v13, 0, -1, vcc
	v_cmp_le_u32_e32 vcc, s20, v9
	v_cndmask_b32_e64 v9, 0, -1, vcc
	v_cmp_eq_u32_e32 vcc, s21, v10
	v_cndmask_b32_e32 v9, v13, v9, vcc
	v_cmp_ne_u32_e32 vcc, 0, v9
	v_cndmask_b32_e32 v10, v6, v11, vcc
	v_cndmask_b32_e64 v6, v14, v12, s[0:1]
	v_cndmask_b32_e32 v9, v2, v6, vcc
.LBB0_4:                                ;   in Loop: Header=BB0_2 Depth=1
	s_andn2_saveexec_b64 s[0:1], s[22:23]
	s_cbranch_execz .LBB0_6
; %bb.5:                                ;   in Loop: Header=BB0_2 Depth=1
	v_cvt_f32_u32_e32 v2, s20
	s_sub_i32 s22, 0, s20
	v_rcp_iflag_f32_e32 v2, v2
	v_mul_f32_e32 v2, 0x4f7ffffe, v2
	v_cvt_u32_f32_e32 v2, v2
	v_mul_lo_u32 v6, s22, v2
	v_mul_hi_u32 v6, v2, v6
	v_add_u32_e32 v2, v2, v6
	v_mul_hi_u32 v2, v7, v2
	v_mul_lo_u32 v6, v2, s20
	v_add_u32_e32 v9, 1, v2
	v_sub_u32_e32 v6, v7, v6
	v_subrev_u32_e32 v10, s20, v6
	v_cmp_le_u32_e32 vcc, s20, v6
	v_cndmask_b32_e32 v6, v6, v10, vcc
	v_cndmask_b32_e32 v2, v2, v9, vcc
	v_add_u32_e32 v9, 1, v2
	v_cmp_le_u32_e32 vcc, s20, v6
	v_cndmask_b32_e32 v9, v2, v9, vcc
	v_mov_b32_e32 v10, v5
.LBB0_6:                                ;   in Loop: Header=BB0_2 Depth=1
	s_or_b64 exec, exec, s[0:1]
	v_mul_lo_u32 v2, v10, s20
	v_mul_lo_u32 v6, v9, s21
	v_mad_u64_u32 v[11:12], s[0:1], v9, s20, 0
	s_load_dwordx2 s[0:1], s[6:7], 0x0
	s_add_u32 s16, s16, 1
	v_add3_u32 v2, v12, v6, v2
	v_sub_co_u32_e32 v6, vcc, v7, v11
	v_subb_co_u32_e32 v2, vcc, v8, v2, vcc
	s_waitcnt lgkmcnt(0)
	v_mul_lo_u32 v2, s0, v2
	v_mul_lo_u32 v7, s1, v6
	v_mad_u64_u32 v[3:4], s[0:1], s0, v6, v[3:4]
	s_addc_u32 s17, s17, 0
	s_add_u32 s6, s6, 8
	v_add3_u32 v4, v7, v4, v2
	v_mov_b32_e32 v6, s10
	v_mov_b32_e32 v7, s11
	s_addc_u32 s7, s7, 0
	v_cmp_ge_u64_e32 vcc, s[16:17], v[6:7]
	s_add_u32 s18, s18, 8
	s_addc_u32 s19, s19, 0
	s_cbranch_vccnz .LBB0_8
; %bb.7:                                ;   in Loop: Header=BB0_2 Depth=1
	v_mov_b32_e32 v7, v9
	v_mov_b32_e32 v8, v10
	s_branch .LBB0_2
.LBB0_8:
	s_lshl_b64 s[0:1], s[10:11], 3
	s_add_u32 s0, s14, s0
	s_addc_u32 s1, s15, s1
	s_load_dwordx2 s[6:7], s[0:1], 0x0
	s_load_dwordx2 s[10:11], s[4:5], 0x20
	v_mov_b32_e32 v8, 0
                                        ; implicit-def: $vgpr7
	s_waitcnt lgkmcnt(0)
	v_mad_u64_u32 v[3:4], s[0:1], s6, v9, v[3:4]
	v_mul_lo_u32 v2, s6, v10
	v_mul_lo_u32 v5, s7, v9
	s_mov_b32 s0, 0x13b13b14
	v_mul_hi_u32 v6, v0, s0
	v_cmp_gt_u64_e32 vcc, s[10:11], v[9:10]
	v_add3_u32 v4, v5, v4, v2
	v_lshlrev_b64 v[14:15], 2, v[3:4]
	v_mul_u32_u24_e32 v2, 13, v6
	v_sub_u32_e32 v28, v0, v2
	v_mov_b32_e32 v2, 0
	v_mov_b32_e32 v3, 0
                                        ; implicit-def: $vgpr6
                                        ; implicit-def: $vgpr0
                                        ; implicit-def: $vgpr10
                                        ; implicit-def: $vgpr9
	s_and_saveexec_b64 s[4:5], vcc
	s_cbranch_execz .LBB0_10
; %bb.9:
	v_mad_u64_u32 v[2:3], s[0:1], s2, v28, 0
	v_add_u32_e32 v7, 13, v28
	v_mov_b32_e32 v6, s13
	v_mov_b32_e32 v0, v3
	v_mad_u64_u32 v[3:4], s[0:1], s3, v28, v[0:1]
	v_mad_u64_u32 v[4:5], s[0:1], s2, v7, 0
	v_add_co_u32_e64 v21, s[0:1], s12, v14
	v_mov_b32_e32 v0, v5
	v_addc_co_u32_e64 v22, s[0:1], v6, v15, s[0:1]
	v_mad_u64_u32 v[5:6], s[0:1], s3, v7, v[0:1]
	v_add_u32_e32 v10, 26, v28
	v_mad_u64_u32 v[6:7], s[0:1], s2, v10, 0
	v_lshlrev_b64 v[2:3], 2, v[2:3]
	v_add_co_u32_e64 v8, s[0:1], v21, v2
	v_mov_b32_e32 v0, v7
	v_addc_co_u32_e64 v9, s[0:1], v22, v3, s[0:1]
	v_lshlrev_b64 v[2:3], 2, v[4:5]
	v_mad_u64_u32 v[4:5], s[0:1], s3, v10, v[0:1]
	v_add_u32_e32 v5, 39, v28
	v_mad_u64_u32 v[10:11], s[0:1], s2, v5, 0
	v_add_co_u32_e64 v12, s[0:1], v21, v2
	v_mov_b32_e32 v0, v11
	v_addc_co_u32_e64 v13, s[0:1], v22, v3, s[0:1]
	v_mov_b32_e32 v7, v4
	v_mad_u64_u32 v[4:5], s[0:1], s3, v5, v[0:1]
	v_lshlrev_b64 v[2:3], 2, v[6:7]
	v_add_u32_e32 v7, 0x41, v28
	v_add_co_u32_e64 v5, s[0:1], v21, v2
	v_mov_b32_e32 v11, v4
	v_add_u32_e32 v4, 52, v28
	v_addc_co_u32_e64 v6, s[0:1], v22, v3, s[0:1]
	v_lshlrev_b64 v[2:3], 2, v[10:11]
	v_mad_u64_u32 v[10:11], s[0:1], s2, v4, 0
	v_add_co_u32_e64 v16, s[0:1], v21, v2
	v_mov_b32_e32 v0, v11
	v_addc_co_u32_e64 v17, s[0:1], v22, v3, s[0:1]
	v_mad_u64_u32 v[18:19], s[0:1], s3, v4, v[0:1]
	v_mad_u64_u32 v[19:20], s[0:1], s2, v7, 0
	global_load_dword v0, v[8:9], off
	global_load_dword v2, v[12:13], off
	;; [unrolled: 1-line block ×4, first 2 shown]
	v_add_u32_e32 v12, 0x4e, v28
	v_mov_b32_e32 v4, v20
	v_mad_u64_u32 v[4:5], s[0:1], s3, v7, v[4:5]
	v_mad_u64_u32 v[5:6], s[0:1], s2, v12, 0
	v_mov_b32_e32 v11, v18
	v_mov_b32_e32 v20, v4
	;; [unrolled: 1-line block ×3, first 2 shown]
	v_lshlrev_b64 v[7:8], 2, v[10:11]
	v_mad_u64_u32 v[11:12], s[0:1], s3, v12, v[4:5]
	v_lshlrev_b64 v[9:10], 2, v[19:20]
	v_mov_b32_e32 v6, v11
	v_add_co_u32_e64 v9, s[0:1], v21, v9
	v_lshlrev_b64 v[4:5], 2, v[5:6]
	v_addc_co_u32_e64 v10, s[0:1], v22, v10, s[0:1]
	v_add_co_u32_e64 v4, s[0:1], v21, v4
	v_addc_co_u32_e64 v5, s[0:1], v22, v5, s[0:1]
	global_load_dword v11, v[9:10], off
	global_load_dword v6, v[4:5], off
	v_add_co_u32_e64 v4, s[0:1], v21, v7
	v_addc_co_u32_e64 v5, s[0:1], v22, v8, s[0:1]
	global_load_dword v8, v[4:5], off
	s_mov_b32 s0, 0xffff
	s_waitcnt vmcnt(2)
	v_lshrrev_b32_e32 v7, 16, v11
	s_waitcnt vmcnt(1)
	v_bfi_b32 v10, s0, v23, v6
	v_bfi_b32 v9, s0, v11, v23
.LBB0_10:
	s_or_b64 exec, exec, s[4:5]
	s_mov_b32 s0, 0xaf286bcb
	v_mul_hi_u32 v5, v1, s0
	s_mov_b32 s0, 0xffff
	s_mov_b32 s1, 0x5040100
	v_add_f16_e32 v11, v6, v2
	v_sub_u32_e32 v13, v1, v5
	v_lshrrev_b32_e32 v13, 1, v13
	v_add_u32_e32 v5, v13, v5
	v_lshrrev_b32_e32 v5, 4, v5
	v_mul_lo_u32 v5, v5, 19
	s_waitcnt vmcnt(0)
	v_bfi_b32 v13, s0, v8, v2
	v_add_f16_sdwa v12, v7, v3 dst_sel:DWORD dst_unused:UNUSED_PAD src0_sel:DWORD src1_sel:WORD_1
	v_pk_add_f16 v16, v13, v10 neg_lo:[0,1] neg_hi:[0,1]
	v_sub_u32_e32 v1, v1, v5
	v_mul_u32_u24_e32 v5, 0x5b, v1
	v_bfi_b32 v1, s0, v3, v8
	v_pk_add_f16 v17, v1, v9 neg_lo:[0,1] neg_hi:[0,1]
	v_pk_add_f16 v13, v10, v13
	v_pk_add_f16 v1, v9, v1
	v_alignbit_b32 v3, v8, v3, 16
	v_perm_b32 v7, v10, v7, s1
	v_alignbit_b32 v2, v2, v8, 16
	v_alignbit_b32 v6, v6, v9, 16
	v_pk_add_f16 v3, v3, v7 neg_lo:[0,1] neg_hi:[0,1]
	v_pk_add_f16 v2, v2, v6 neg_lo:[0,1] neg_hi:[0,1]
	v_bfi_b32 v6, s0, v11, v13
	v_pack_b32_f16 v7, v1, v12
	v_pk_add_f16 v6, v6, v7
	v_sub_f16_e32 v7, v1, v11
	v_bfi_b32 v10, s0, v11, v1
	v_pack_b32_f16 v11, v13, v12
	s_mov_b32 s4, 0x7060302
	v_pk_add_f16 v9, v13, v1 neg_lo:[0,1] neg_hi:[0,1]
	v_pk_add_f16 v10, v10, v11 neg_lo:[0,1] neg_hi:[0,1]
	v_pack_b32_f16 v11, v2, v17
	v_perm_b32 v18, v3, v16, s4
	v_bfi_b32 v1, s0, v13, v1
	s_mov_b32 s5, 0x2b263a52
	v_sub_f16_sdwa v8, v12, v13 dst_sel:DWORD dst_unused:UNUSED_PAD src0_sel:DWORD src1_sel:WORD_1
	v_pk_add_f16 v12, v11, v3
	v_pk_add_f16 v11, v18, v11 neg_lo:[0,1] neg_hi:[0,1]
	v_pk_add_f16 v1, v6, v1
	v_pk_mul_f16 v6, v10, s5
	s_mov_b32 s5, 0xb8463574
	v_pk_add_f16 v19, v2, v3 neg_lo:[0,1] neg_hi:[0,1]
	v_sub_f16_sdwa v17, v17, v2 dst_sel:DWORD dst_unused:UNUSED_PAD src0_sel:DWORD src1_sel:WORD_1
	v_perm_b32 v2, v2, v16, s4
	v_pk_add_f16 v29, v1, v0
	s_mov_b32 s4, 0x3a522b26
	v_pk_mul_f16 v10, v11, s5
	s_mov_b32 s6, 0x3574b846
	s_mov_b32 s7, 0xbcab
	v_pk_add_f16 v2, v2, v12
	v_pk_mul_f16 v0, v9, s4
	v_pk_fma_f16 v1, v1, s7, v29 op_sel_hi:[1,0,1]
	v_pk_fma_f16 v9, v9, s4, v6
	v_pk_fma_f16 v10, v19, s6, v10
	s_movk_i32 s4, 0x370e
	v_pk_add_f16 v9, v9, v1
	v_pk_fma_f16 v10, v2, s4, v10 op_sel_hi:[1,0,1]
	v_mad_u32_u24 v4, v28, 28, 0
	v_mul_f16_e32 v12, 0x3b00, v17
	v_pk_add_f16 v18, v9, v10
	v_pk_add_f16 v17, v9, v10 neg_lo:[0,1] neg_hi:[0,1]
	v_lshl_add_u32 v22, v5, 2, v4
	v_bfi_b32 v9, s0, v18, v17
	s_mov_b32 s7, 0x8000
	v_sub_f16_sdwa v3, v3, v16 dst_sel:DWORD dst_unused:UNUSED_PAD src0_sel:DWORD src1_sel:WORD_1
	v_mul_f16_e32 v7, 0x39e0, v7
	v_mul_f16_e32 v8, 0x39e0, v8
	ds_write2_b32 v22, v29, v9 offset1:1
	v_xor_b32_sdwa v9, s7, v0 dst_sel:DWORD dst_unused:UNUSED_PAD src0_sel:DWORD src1_sel:WORD_1
	v_mul_f16_e32 v3, 0x3b00, v3
	v_perm_b32 v9, v9, v7, s1
	v_pack_b32_f16 v0, v0, v8
	v_pk_add_f16 v0, v9, v0 neg_lo:[0,1] neg_hi:[0,1]
	v_pack_b32_f16 v9, v3, -v12
	v_pack_b32_f16 v8, -v6, v8
	v_bfi_b32 v6, s0, v7, v6
	v_pack_b32_f16 v3, -v3, v12
	v_pk_fma_f16 v9, v19, s6, v9 neg_lo:[1,0,0] neg_hi:[1,0,0]
	v_pk_add_f16 v6, v8, v6 neg_lo:[0,1] neg_hi:[0,1]
	v_pk_fma_f16 v3, v11, s5, v3 neg_lo:[1,0,0] neg_hi:[1,0,0]
	v_pk_add_f16 v0, v0, v1
	v_pk_fma_f16 v9, v2, s4, v9 op_sel_hi:[1,0,1]
	v_pk_add_f16 v1, v6, v1
	v_pk_fma_f16 v2, v2, s4, v3 op_sel_hi:[1,0,1]
	v_add_f16_e32 v19, v1, v2
	v_pk_add_f16 v16, v1, v2 neg_lo:[0,1] neg_hi:[0,1]
	v_alignbit_b32 v2, v0, v2, 16
	v_alignbit_b32 v1, v9, v1, 16
	v_pk_add_f16 v20, v0, v9 neg_lo:[0,1] neg_hi:[0,1]
	v_pk_add_f16 v7, v9, v0
	v_pk_add_f16 v1, v2, v1
	v_lshrrev_b32_e32 v30, 16, v18
	v_lshrrev_b32_e32 v31, 16, v7
	v_alignbit_b32 v0, v20, v20, 16
	v_alignbit_b32 v2, v16, v16, 16
	v_lshrrev_b32_e32 v21, 16, v1
	v_alignbit_b32 v3, v17, v7, 16
	v_cmp_gt_u32_e64 s[0:1], 7, v28
	v_lshrrev_b32_e32 v33, 16, v17
	v_lshrrev_b32_e32 v34, 16, v20
	;; [unrolled: 1-line block ×3, first 2 shown]
	ds_write_b16 v22, v19 offset:8
	ds_write_b128 v22, v[0:3] offset:10
	ds_write_b16 v22, v30 offset:26
	s_waitcnt lgkmcnt(0)
	s_barrier
	s_waitcnt lgkmcnt(0)
                                        ; implicit-def: $vgpr38
                                        ; implicit-def: $vgpr37
                                        ; implicit-def: $vgpr35
                                        ; implicit-def: $vgpr36
                                        ; implicit-def: $vgpr32
                                        ; implicit-def: $vgpr0
                                        ; implicit-def: $vgpr27
                                        ; implicit-def: $vgpr25
                                        ; implicit-def: $vgpr23
	s_and_saveexec_b64 s[4:5], s[0:1]
	s_cbranch_execnz .LBB0_13
; %bb.11:
	s_or_b64 exec, exec, s[4:5]
	s_and_b64 s[0:1], vcc, s[0:1]
	s_and_saveexec_b64 s[4:5], s[0:1]
	s_cbranch_execnz .LBB0_14
.LBB0_12:
	s_endpgm
.LBB0_13:
	v_lshlrev_b32_e32 v0, 2, v5
	v_lshlrev_b32_e32 v1, 2, v28
	v_mul_i32_i24_e32 v2, 0xffffffe8, v28
	v_add3_u32 v1, 0, v0, v1
	v_add3_u32 v0, v4, v2, v0
	ds_read2_b32 v[18:19], v0 offset0:7 offset1:14
	ds_read2_b32 v[20:21], v0 offset0:21 offset1:28
	;; [unrolled: 1-line block ×6, first 2 shown]
	ds_read_b32 v29, v1
	ds_read_u16 v0, v0 offset:198
	s_waitcnt lgkmcnt(4)
	v_lshrrev_b32_e32 v32, 16, v23
	s_waitcnt lgkmcnt(3)
	v_lshrrev_b32_e32 v36, 16, v24
	v_lshrrev_b32_e32 v35, 16, v25
	s_waitcnt lgkmcnt(2)
	v_lshrrev_b32_e32 v37, 16, v26
	v_lshrrev_b32_e32 v38, 16, v27
	;; [unrolled: 1-line block ×8, first 2 shown]
	s_or_b64 exec, exec, s[4:5]
	s_and_b64 s[0:1], vcc, s[0:1]
	s_and_saveexec_b64 s[4:5], s[0:1]
	s_cbranch_execz .LBB0_12
.LBB0_14:
	v_mul_u32_u24_e32 v2, 12, v28
	v_lshlrev_b32_e32 v40, 2, v2
	global_load_dwordx4 v[2:5], v40, s[8:9] offset:32
	global_load_dwordx4 v[10:13], v40, s[8:9]
	global_load_dwordx4 v[6:9], v40, s[8:9] offset:16
	v_add_u32_e32 v47, 7, v28
	v_mad_u64_u32 v[40:41], s[0:1], s2, v28, 0
	v_mad_u64_u32 v[42:43], s[0:1], s2, v47, 0
	v_mov_b32_e32 v46, s13
	v_add_co_u32_e32 v14, vcc, s12, v14
	v_mad_u64_u32 v[44:45], s[0:1], s3, v28, v[41:42]
	v_addc_co_u32_e32 v15, vcc, v46, v15, vcc
	v_mov_b32_e32 v41, v44
	s_movk_i32 s5, 0x3b15
	v_lshlrev_b64 v[40:41], 2, v[40:41]
	s_movk_i32 s4, 0x2fb7
	s_mov_b32 s7, 0xb5ac
	v_add_co_u32_e32 v40, vcc, v14, v40
	s_mov_b32 s6, 0xb9fd
	v_addc_co_u32_e32 v41, vcc, v15, v41, vcc
	v_add_u32_e32 v69, 28, v28
	v_add_u32_e32 v82, 35, v28
	s_waitcnt vmcnt(2)
	v_mul_f16_sdwa v49, v35, v3 dst_sel:DWORD dst_unused:UNUSED_PAD src0_sel:DWORD src1_sel:WORD_1
	s_waitcnt vmcnt(1)
	v_mul_f16_sdwa v55, v33, v10 dst_sel:DWORD dst_unused:UNUSED_PAD src0_sel:DWORD src1_sel:WORD_1
	v_mul_f16_sdwa v57, v18, v10 dst_sel:DWORD dst_unused:UNUSED_PAD src0_sel:DWORD src1_sel:WORD_1
	;; [unrolled: 1-line block ×4, first 2 shown]
	s_waitcnt vmcnt(0) lgkmcnt(0)
	v_mul_f16_sdwa v62, v0, v8 dst_sel:DWORD dst_unused:UNUSED_PAD src0_sel:DWORD src1_sel:WORD_1
	v_mul_f16_sdwa v64, v22, v8 dst_sel:DWORD dst_unused:UNUSED_PAD src0_sel:DWORD src1_sel:WORD_1
	v_fma_f16 v18, v18, v10, -v55
	v_fma_f16 v10, v33, v10, v57
	v_mul_f16_sdwa v51, v25, v3 dst_sel:DWORD dst_unused:UNUSED_PAD src0_sel:DWORD src1_sel:WORD_1
	v_mul_f16_sdwa v53, v20, v12 dst_sel:DWORD dst_unused:UNUSED_PAD src0_sel:DWORD src1_sel:WORD_1
	v_fma_f16 v19, v19, v11, -v56
	v_fma_f16 v11, v34, v11, v58
	v_fma_f16 v22, v22, v8, -v62
	v_fma_f16 v8, v0, v8, v64
	v_add_f16_sdwa v0, v10, v29 dst_sel:DWORD dst_unused:UNUSED_PAD src0_sel:DWORD src1_sel:WORD_1
	v_mul_f16_sdwa v54, v1, v12 dst_sel:DWORD dst_unused:UNUSED_PAD src0_sel:DWORD src1_sel:WORD_1
	v_mul_f16_sdwa v59, v39, v13 dst_sel:DWORD dst_unused:UNUSED_PAD src0_sel:DWORD src1_sel:WORD_1
	;; [unrolled: 1-line block ×3, first 2 shown]
	v_fma_f16 v25, v25, v3, -v49
	v_fma_f16 v3, v35, v3, v51
	v_fma_f16 v35, v1, v12, v53
	v_add_f16_e32 v1, v18, v29
	v_add_f16_e32 v0, v0, v11
	v_mul_f16_sdwa v65, v31, v6 dst_sel:DWORD dst_unused:UNUSED_PAD src0_sel:DWORD src1_sel:WORD_1
	v_mul_f16_sdwa v67, v16, v6 dst_sel:DWORD dst_unused:UNUSED_PAD src0_sel:DWORD src1_sel:WORD_1
	v_fma_f16 v12, v20, v12, -v54
	v_fma_f16 v20, v21, v13, -v59
	v_fma_f16 v13, v39, v13, v60
	v_add_f16_e32 v1, v1, v19
	v_add_f16_e32 v0, v0, v35
	v_mul_f16_sdwa v66, v30, v7 dst_sel:DWORD dst_unused:UNUSED_PAD src0_sel:DWORD src1_sel:WORD_1
	v_mul_f16_sdwa v68, v17, v7 dst_sel:DWORD dst_unused:UNUSED_PAD src0_sel:DWORD src1_sel:WORD_1
	v_fma_f16 v16, v16, v6, -v65
	v_fma_f16 v6, v31, v6, v67
	v_add_f16_e32 v1, v1, v12
	v_add_f16_e32 v0, v0, v13
	v_fma_f16 v17, v17, v7, -v66
	v_fma_f16 v7, v30, v7, v68
	v_add_f16_e32 v1, v1, v20
	v_add_f16_e32 v0, v0, v6
	v_mul_f16_sdwa v61, v32, v9 dst_sel:DWORD dst_unused:UNUSED_PAD src0_sel:DWORD src1_sel:WORD_1
	v_mul_f16_sdwa v63, v23, v9 dst_sel:DWORD dst_unused:UNUSED_PAD src0_sel:DWORD src1_sel:WORD_1
	v_add_f16_e32 v1, v1, v16
	v_add_f16_e32 v0, v0, v7
	v_mul_f16_sdwa v50, v36, v2 dst_sel:DWORD dst_unused:UNUSED_PAD src0_sel:DWORD src1_sel:WORD_1
	v_mul_f16_sdwa v52, v24, v2 dst_sel:DWORD dst_unused:UNUSED_PAD src0_sel:DWORD src1_sel:WORD_1
	v_fma_f16 v21, v23, v9, -v61
	v_fma_f16 v9, v32, v9, v63
	v_add_f16_e32 v1, v1, v17
	v_add_f16_e32 v0, v0, v8
	v_fma_f16 v24, v24, v2, -v50
	v_fma_f16 v2, v36, v2, v52
	v_add_f16_e32 v1, v1, v22
	v_add_f16_e32 v0, v9, v0
	v_mul_f16_sdwa v45, v37, v4 dst_sel:DWORD dst_unused:UNUSED_PAD src0_sel:DWORD src1_sel:WORD_1
	v_mul_f16_sdwa v48, v26, v4 dst_sel:DWORD dst_unused:UNUSED_PAD src0_sel:DWORD src1_sel:WORD_1
	v_add_f16_e32 v1, v21, v1
	v_add_f16_e32 v0, v2, v0
	v_mul_f16_sdwa v44, v38, v5 dst_sel:DWORD dst_unused:UNUSED_PAD src0_sel:DWORD src1_sel:WORD_1
	v_mul_f16_sdwa v46, v27, v5 dst_sel:DWORD dst_unused:UNUSED_PAD src0_sel:DWORD src1_sel:WORD_1
	v_fma_f16 v26, v26, v4, -v45
	v_fma_f16 v4, v37, v4, v48
	v_add_f16_e32 v1, v24, v1
	v_add_f16_e32 v0, v3, v0
	v_fma_f16 v27, v27, v5, -v44
	v_fma_f16 v5, v38, v5, v46
	v_add_f16_e32 v1, v25, v1
	v_add_f16_e32 v0, v4, v0
	;; [unrolled: 1-line block ×3, first 2 shown]
	v_add_f16_sdwa v30, v5, v0 dst_sel:WORD_1 dst_unused:UNUSED_PAD src0_sel:DWORD src1_sel:DWORD
	v_mad_u64_u32 v[0:1], s[0:1], s3, v47, v[43:44]
	v_add_f16_e32 v1, v27, v23
	v_sub_f16_e32 v23, v18, v27
	v_add_f16_e32 v18, v18, v27
	v_add_f16_e32 v27, v10, v5
	v_sub_f16_e32 v5, v10, v5
	v_sub_f16_e32 v10, v19, v26
	;; [unrolled: 1-line block ×3, first 2 shown]
	v_add_f16_e32 v16, v16, v21
	v_add_f16_e32 v21, v6, v9
	v_sub_f16_e32 v6, v6, v9
	v_sub_f16_e32 v9, v17, v22
	v_add_f16_e32 v17, v17, v22
	v_add_f16_e32 v22, v7, v8
	v_sub_f16_e32 v7, v7, v8
	v_mul_f16_e32 v8, 0xb770, v23
	v_or_b32_e32 v1, v30, v1
	v_add_f16_e32 v19, v19, v26
	v_add_f16_e32 v26, v11, v4
	v_sub_f16_e32 v30, v12, v25
	v_sub_f16_e32 v32, v20, v24
	v_add_f16_e32 v20, v20, v24
	v_add_f16_e32 v24, v13, v2
	v_sub_f16_e32 v13, v13, v2
	s_movk_i32 s1, 0x388b
	v_fma_f16 v2, v27, s5, v8
	v_mul_f16_e32 v34, 0xba95, v10
	v_add_f16_e32 v12, v12, v25
	v_add_f16_e32 v25, v35, v3
	v_sub_f16_e32 v31, v35, v3
	v_add_f16_sdwa v2, v2, v29 dst_sel:DWORD dst_unused:UNUSED_PAD src0_sel:DWORD src1_sel:WORD_1
	v_fma_f16 v3, v26, s1, v34
	v_mul_f16_e32 v35, 0xbbf1, v30
	v_add_f16_e32 v2, v2, v3
	v_fma_f16 v3, v25, s4, v35
	v_mul_f16_e32 v36, 0xbb7b, v32
	v_add_f16_e32 v2, v2, v3
	v_fma_f16 v3, v24, s7, v36
	v_mul_f16_e32 v37, 0xb94e, v33
	v_add_f16_e32 v2, v2, v3
	v_fma_f16 v3, v21, s6, v37
	s_mov_b32 s0, 0xbbc4
	v_mul_f16_e32 v38, 0xb3a8, v9
	global_store_dword v[40:41], v1, off
	v_sub_f16_e32 v11, v11, v4
	v_add_f16_e32 v2, v2, v3
	v_fma_f16 v3, v22, s0, v38
	v_mul_f16_e32 v40, 0xb770, v5
	v_mov_b32_e32 v43, v0
	v_add_f16_e32 v39, v2, v3
	v_fma_f16 v2, v18, s5, -v40
	v_mul_f16_e32 v41, 0xba95, v11
	v_lshlrev_b64 v[0:1], 2, v[42:43]
	v_add_f16_e32 v2, v2, v29
	v_fma_f16 v3, v19, s1, -v41
	v_mul_f16_e32 v42, 0xbbf1, v31
	v_add_f16_e32 v2, v2, v3
	v_fma_f16 v3, v12, s4, -v42
	v_mul_f16_e32 v43, 0xbb7b, v13
	v_add_f16_e32 v2, v2, v3
	v_fma_f16 v3, v20, s7, -v43
	v_add_u32_e32 v46, 14, v28
	v_add_f16_e32 v4, v2, v3
	v_mad_u64_u32 v[2:3], s[8:9], s2, v46, 0
	v_mul_f16_e32 v44, 0xb94e, v6
	v_fma_f16 v45, v16, s6, -v44
	v_add_f16_e32 v45, v4, v45
	v_mul_f16_e32 v47, 0xb3a8, v7
	v_mad_u64_u32 v[3:4], s[8:9], s3, v46, v[3:4]
	v_fma_f16 v48, v17, s0, -v47
	v_add_co_u32_e32 v0, vcc, v14, v0
	v_add_f16_e32 v4, v45, v48
	v_addc_co_u32_e32 v1, vcc, v15, v1, vcc
	v_pack_b32_f16 v4, v4, v39
	v_mul_f16_e32 v39, 0xba95, v23
	global_store_dword v[0:1], v4, off
	v_lshlrev_b64 v[0:1], 2, v[2:3]
	v_fma_f16 v2, v27, s1, v39
	v_mul_f16_e32 v45, 0xbb7b, v10
	v_add_f16_sdwa v2, v2, v29 dst_sel:DWORD dst_unused:UNUSED_PAD src0_sel:DWORD src1_sel:WORD_1
	v_fma_f16 v3, v26, s7, v45
	v_mul_f16_e32 v46, 0xb3a8, v30
	v_add_f16_e32 v2, v2, v3
	v_fma_f16 v3, v25, s0, v46
	v_mul_f16_e32 v48, 0x394e, v32
	v_add_f16_e32 v2, v2, v3
	;; [unrolled: 3-line block ×5, first 2 shown]
	v_fma_f16 v2, v18, s1, -v52
	v_mul_f16_e32 v53, 0xbb7b, v11
	v_add_f16_e32 v2, v2, v29
	v_fma_f16 v3, v19, s7, -v53
	v_mul_f16_e32 v54, 0xb3a8, v31
	v_add_f16_e32 v2, v2, v3
	;; [unrolled: 3-line block ×3, first 2 shown]
	v_fma_f16 v3, v20, s6, -v55
	v_add_u32_e32 v58, 21, v28
	v_add_f16_e32 v4, v2, v3
	v_mad_u64_u32 v[2:3], s[8:9], s2, v58, 0
	v_mul_f16_e32 v56, 0x3bf1, v6
	v_fma_f16 v57, v16, s4, -v56
	v_add_f16_e32 v57, v4, v57
	v_mul_f16_e32 v59, 0x3770, v7
	v_mad_u64_u32 v[3:4], s[8:9], s3, v58, v[3:4]
	v_fma_f16 v60, v17, s5, -v59
	v_add_co_u32_e32 v0, vcc, v14, v0
	v_add_f16_e32 v4, v57, v60
	v_addc_co_u32_e32 v1, vcc, v15, v1, vcc
	v_pack_b32_f16 v4, v4, v51
	v_mul_f16_e32 v51, 0xbbf1, v23
	global_store_dword v[0:1], v4, off
	v_lshlrev_b64 v[0:1], 2, v[2:3]
	v_fma_f16 v2, v27, s4, v51
	v_mul_f16_e32 v57, 0xb3a8, v10
	v_add_f16_sdwa v2, v2, v29 dst_sel:DWORD dst_unused:UNUSED_PAD src0_sel:DWORD src1_sel:WORD_1
	v_fma_f16 v3, v26, s0, v57
	v_mul_f16_e32 v58, 0x3b7b, v30
	v_add_f16_e32 v2, v2, v3
	v_fma_f16 v3, v25, s7, v58
	v_mul_f16_e32 v60, 0x3770, v32
	v_add_f16_e32 v2, v2, v3
	;; [unrolled: 3-line block ×5, first 2 shown]
	v_fma_f16 v2, v18, s4, -v64
	v_mul_f16_e32 v65, 0xb3a8, v11
	v_add_f16_e32 v2, v2, v29
	v_fma_f16 v3, v19, s0, -v65
	v_mul_f16_e32 v66, 0x3b7b, v31
	v_add_f16_e32 v2, v2, v3
	;; [unrolled: 3-line block ×3, first 2 shown]
	v_fma_f16 v3, v20, s5, -v67
	v_add_f16_e32 v4, v2, v3
	v_mad_u64_u32 v[2:3], s[8:9], s2, v69, 0
	v_mul_f16_e32 v68, 0xba95, v6
	v_fma_f16 v70, v16, s1, -v68
	v_add_f16_e32 v70, v4, v70
	v_mul_f16_e32 v71, 0xb94e, v7
	v_mad_u64_u32 v[3:4], s[8:9], s3, v69, v[3:4]
	v_fma_f16 v4, v17, s6, -v71
	v_add_co_u32_e32 v0, vcc, v14, v0
	v_add_f16_e32 v4, v70, v4
	v_addc_co_u32_e32 v1, vcc, v15, v1, vcc
	v_pack_b32_f16 v4, v4, v63
	v_mul_f16_e32 v63, 0xbb7b, v23
	global_store_dword v[0:1], v4, off
	v_lshlrev_b64 v[0:1], 2, v[2:3]
	v_fma_f16 v2, v27, s7, v63
	v_mul_f16_e32 v69, 0x394e, v10
	v_add_f16_sdwa v2, v2, v29 dst_sel:DWORD dst_unused:UNUSED_PAD src0_sel:DWORD src1_sel:WORD_1
	v_fma_f16 v3, v26, s6, v69
	v_mul_f16_e32 v70, 0x3770, v30
	v_add_f16_e32 v2, v2, v3
	v_fma_f16 v3, v25, s5, v70
	v_mul_f16_e32 v72, 0xbbf1, v32
	v_add_f16_e32 v2, v2, v3
	;; [unrolled: 3-line block ×5, first 2 shown]
	v_fma_f16 v2, v18, s7, -v76
	v_mul_f16_e32 v77, 0x394e, v11
	v_add_f16_e32 v2, v2, v29
	v_fma_f16 v3, v19, s6, -v77
	v_mul_f16_e32 v78, 0x3770, v31
	v_add_f16_e32 v2, v2, v3
	;; [unrolled: 3-line block ×3, first 2 shown]
	v_fma_f16 v3, v20, s4, -v79
	v_add_f16_e32 v4, v2, v3
	v_mad_u64_u32 v[2:3], s[8:9], s2, v82, 0
	v_mul_f16_e32 v80, 0x33a8, v6
	v_fma_f16 v81, v16, s0, -v80
	v_add_f16_e32 v81, v4, v81
	v_mul_f16_e32 v83, 0x3a95, v7
	v_mad_u64_u32 v[3:4], s[8:9], s3, v82, v[3:4]
	v_fma_f16 v84, v17, s1, -v83
	v_add_co_u32_e32 v0, vcc, v14, v0
	v_add_f16_e32 v4, v81, v84
	v_addc_co_u32_e32 v1, vcc, v15, v1, vcc
	v_pack_b32_f16 v4, v4, v75
	global_store_dword v[0:1], v4, off
	v_lshlrev_b64 v[0:1], 2, v[2:3]
	v_mul_f16_e32 v2, 0xb94e, v23
	v_fma_f16 v3, v27, s6, v2
	v_mul_f16_e32 v4, 0x3bf1, v10
	v_add_f16_sdwa v3, v3, v29 dst_sel:DWORD dst_unused:UNUSED_PAD src0_sel:DWORD src1_sel:WORD_1
	v_fma_f16 v75, v26, s4, v4
	v_add_f16_e32 v3, v3, v75
	v_mul_f16_e32 v75, 0xba95, v30
	v_fma_f16 v81, v25, s1, v75
	v_add_f16_e32 v3, v3, v81
	v_mul_f16_e32 v81, 0x33a8, v32
	;; [unrolled: 3-line block ×5, first 2 shown]
	v_fma_f16 v86, v18, s6, -v85
	v_mul_f16_e32 v87, 0x3bf1, v11
	v_add_f16_e32 v86, v86, v29
	v_fma_f16 v88, v19, s4, -v87
	v_add_f16_e32 v86, v86, v88
	v_mul_f16_e32 v88, 0xba95, v31
	v_fma_f16 v89, v12, s1, -v88
	v_add_f16_e32 v86, v86, v89
	v_mul_f16_e32 v89, 0x33a8, v13
	;; [unrolled: 3-line block ×4, first 2 shown]
	v_fma_f16 v92, v17, s7, -v91
	v_add_co_u32_e32 v0, vcc, v14, v0
	v_add_f16_e32 v86, v86, v92
	v_addc_co_u32_e32 v1, vcc, v15, v1, vcc
	v_pack_b32_f16 v3, v86, v3
	global_store_dword v[0:1], v3, off
	v_mul_f16_e32 v0, 0xb3a8, v23
	v_fma_f16 v1, v27, s0, v0
	v_mul_f16_e32 v3, 0x3770, v10
	v_add_f16_sdwa v1, v1, v29 dst_sel:DWORD dst_unused:UNUSED_PAD src0_sel:DWORD src1_sel:WORD_1
	v_fma_f16 v10, v26, s5, v3
	v_add_f16_e32 v1, v1, v10
	v_mul_f16_e32 v10, 0xb94e, v30
	v_fma_f16 v23, v25, s6, v10
	v_add_f16_e32 v1, v1, v23
	v_mul_f16_e32 v23, 0x3a95, v32
	v_fma_f16 v0, v27, s0, -v0
	v_fma_f16 v30, v24, s1, v23
	v_add_f16_sdwa v0, v0, v29 dst_sel:DWORD dst_unused:UNUSED_PAD src0_sel:DWORD src1_sel:WORD_1
	v_fma_f16 v3, v26, s5, -v3
	v_add_f16_e32 v1, v1, v30
	v_mul_f16_e32 v30, 0xbb7b, v33
	v_add_f16_e32 v0, v0, v3
	v_fma_f16 v3, v25, s6, -v10
	v_fma_f16 v32, v21, s7, v30
	v_mul_f16_e32 v9, 0x3bf1, v9
	v_add_f16_e32 v0, v0, v3
	v_fma_f16 v3, v24, s1, -v23
	v_add_f16_e32 v1, v1, v32
	v_fma_f16 v32, v22, s4, v9
	v_add_f16_e32 v0, v0, v3
	v_fma_f16 v3, v21, s7, -v30
	v_add_f16_e32 v32, v1, v32
	v_mul_f16_e32 v1, 0xb3a8, v5
	v_add_f16_e32 v0, v0, v3
	v_fma_f16 v3, v22, s4, -v9
	v_mul_f16_e32 v11, 0x3770, v11
	v_add_f16_e32 v9, v0, v3
	v_fma_f16 v0, v18, s0, v1
	v_fma_f16 v5, v18, s0, -v1
	v_mul_f16_e32 v31, 0xb94e, v31
	v_add_f16_e32 v0, v0, v29
	v_fma_f16 v1, v19, s5, v11
	v_mul_f16_e32 v13, 0x3a95, v13
	v_add_f16_e32 v0, v0, v1
	v_fma_f16 v1, v12, s6, v31
	v_add_f16_e32 v5, v5, v29
	v_fma_f16 v33, v19, s5, -v11
	v_mul_f16_e32 v6, 0xbb7b, v6
	v_add_f16_e32 v0, v0, v1
	v_fma_f16 v1, v20, s1, v13
	v_add_f16_e32 v5, v5, v33
	v_fma_f16 v33, v12, s6, -v31
	;; [unrolled: 5-line block ×3, first 2 shown]
	v_add_f16_e32 v0, v0, v1
	v_fma_f16 v1, v17, s4, v7
	v_add_f16_e32 v5, v5, v33
	v_fma_f16 v33, v16, s7, -v6
	v_add_f16_e32 v6, v0, v1
	v_fma_f16 v0, v27, s6, -v2
	v_add_f16_sdwa v0, v0, v29 dst_sel:DWORD dst_unused:UNUSED_PAD src0_sel:DWORD src1_sel:WORD_1
	v_fma_f16 v1, v26, s4, -v4
	v_add_f16_e32 v0, v0, v1
	v_fma_f16 v1, v25, s1, -v75
	v_add_f16_e32 v0, v0, v1
	;; [unrolled: 2-line block ×6, first 2 shown]
	v_fma_f16 v0, v18, s6, v85
	v_add_f16_e32 v0, v0, v29
	v_fma_f16 v1, v19, s4, v87
	v_add_f16_e32 v0, v0, v1
	v_fma_f16 v1, v12, s1, v88
	v_add_f16_e32 v0, v0, v1
	v_fma_f16 v1, v20, s0, v89
	v_add_f16_e32 v0, v0, v1
	v_fma_f16 v1, v16, s5, v90
	v_add_f16_e32 v0, v0, v1
	v_fma_f16 v1, v17, s7, v91
	v_add_f16_e32 v10, v0, v1
	v_fma_f16 v0, v27, s7, -v63
	v_add_f16_sdwa v0, v0, v29 dst_sel:DWORD dst_unused:UNUSED_PAD src0_sel:DWORD src1_sel:WORD_1
	v_fma_f16 v1, v26, s6, -v69
	v_add_f16_e32 v0, v0, v1
	v_fma_f16 v1, v25, s5, -v70
	v_add_f16_e32 v0, v0, v1
	v_fma_f16 v1, v24, s4, -v72
	v_add_f16_e32 v0, v0, v1
	v_fma_f16 v1, v21, s0, -v73
	v_add_f16_e32 v0, v0, v1
	v_fma_f16 v1, v22, s1, -v74
	v_add_f16_e32 v11, v0, v1
	v_fma_f16 v0, v18, s7, v76
	v_add_f16_e32 v0, v0, v29
	v_fma_f16 v1, v19, s6, v77
	v_add_f16_e32 v0, v0, v1
	v_fma_f16 v1, v12, s5, v78
	v_add_f16_e32 v0, v0, v1
	v_fma_f16 v1, v20, s4, v79
	v_add_f16_e32 v0, v0, v1
	v_fma_f16 v1, v16, s0, v80
	v_add_f16_e32 v0, v0, v1
	v_fma_f16 v1, v17, s1, v83
	v_add_f16_e32 v13, v0, v1
	v_fma_f16 v0, v27, s4, -v51
	v_add_f16_sdwa v0, v0, v29 dst_sel:DWORD dst_unused:UNUSED_PAD src0_sel:DWORD src1_sel:WORD_1
	v_fma_f16 v1, v26, s0, -v57
	v_add_f16_e32 v0, v0, v1
	v_fma_f16 v1, v25, s7, -v58
	v_add_f16_e32 v0, v0, v1
	v_fma_f16 v1, v24, s5, -v60
	v_add_f16_e32 v0, v0, v1
	v_fma_f16 v1, v21, s1, -v61
	v_add_f16_e32 v0, v0, v1
	v_fma_f16 v1, v22, s6, -v62
	v_add_f16_e32 v23, v0, v1
	;; [unrolled: 24-line block ×3, first 2 shown]
	v_fma_f16 v0, v18, s1, v52
	v_add_f16_e32 v0, v0, v29
	v_fma_f16 v1, v19, s7, v53
	v_add_f16_e32 v0, v0, v1
	;; [unrolled: 2-line block ×6, first 2 shown]
	v_add_f16_e32 v33, v0, v1
	v_fma_f16 v0, v27, s5, -v8
	v_fma_f16 v1, v26, s1, -v34
	v_add_f16_sdwa v0, v0, v29 dst_sel:DWORD dst_unused:UNUSED_PAD src0_sel:DWORD src1_sel:WORD_1
	v_add_f16_e32 v0, v0, v1
	v_fma_f16 v1, v25, s4, -v35
	v_add_f16_e32 v0, v0, v1
	v_fma_f16 v1, v24, s7, -v36
	v_add_f16_e32 v0, v0, v1
	v_fma_f16 v1, v21, s6, -v37
	v_add_f16_e32 v0, v0, v1
	v_fma_f16 v1, v22, s0, -v38
	v_add_f16_e32 v8, v0, v1
	v_fma_f16 v0, v18, s5, v40
	v_add_f16_e32 v0, v0, v29
	v_fma_f16 v1, v19, s1, v41
	v_add_u32_e32 v3, 42, v28
	v_add_f16_e32 v2, v0, v1
	v_mad_u64_u32 v[0:1], s[8:9], s2, v3, 0
	v_fma_f16 v4, v12, s4, v42
	v_add_f16_e32 v4, v2, v4
	v_mad_u64_u32 v[1:2], s[4:5], s3, v3, v[1:2]
	v_fma_f16 v12, v20, s7, v43
	v_add_f16_e32 v2, v4, v12
	v_fma_f16 v3, v16, s6, v44
	v_add_u32_e32 v4, 49, v28
	v_add_f16_e32 v12, v2, v3
	v_lshlrev_b64 v[0:1], 2, v[0:1]
	v_mad_u64_u32 v[2:3], s[4:5], s2, v4, 0
	v_add_co_u32_e32 v0, vcc, v14, v0
	v_addc_co_u32_e32 v1, vcc, v15, v1, vcc
	v_pack_b32_f16 v5, v5, v32
	global_store_dword v[0:1], v5, off
	v_mov_b32_e32 v0, v3
	v_fma_f16 v16, v17, s0, v47
	v_mad_u64_u32 v[0:1], s[0:1], s3, v4, v[0:1]
	v_or_b32_e32 v17, 56, v28
	v_mad_u64_u32 v[4:5], s[0:1], s2, v17, 0
	v_mov_b32_e32 v3, v0
	v_lshlrev_b64 v[0:1], 2, v[2:3]
	v_mov_b32_e32 v2, v5
	v_mad_u64_u32 v[2:3], s[0:1], s3, v17, v[2:3]
	v_add_co_u32_e32 v0, vcc, v14, v0
	v_addc_co_u32_e32 v1, vcc, v15, v1, vcc
	v_pack_b32_f16 v3, v6, v9
	v_mov_b32_e32 v5, v2
	global_store_dword v[0:1], v3, off
	v_lshlrev_b64 v[0:1], 2, v[4:5]
	v_add_u32_e32 v4, 63, v28
	v_mad_u64_u32 v[2:3], s[0:1], s2, v4, 0
	v_pack_b32_f16 v6, v10, v7
	v_add_u32_e32 v7, 0x46, v28
	v_mad_u64_u32 v[3:4], s[0:1], s3, v4, v[3:4]
	v_mad_u64_u32 v[4:5], s[0:1], s2, v7, 0
	v_add_co_u32_e32 v0, vcc, v14, v0
	v_addc_co_u32_e32 v1, vcc, v15, v1, vcc
	global_store_dword v[0:1], v6, off
	v_lshlrev_b64 v[0:1], 2, v[2:3]
	v_mov_b32_e32 v2, v5
	v_mad_u64_u32 v[2:3], s[0:1], s3, v7, v[2:3]
	v_add_co_u32_e32 v0, vcc, v14, v0
	v_addc_co_u32_e32 v1, vcc, v15, v1, vcc
	v_pack_b32_f16 v3, v13, v11
	v_mov_b32_e32 v5, v2
	global_store_dword v[0:1], v3, off
	v_lshlrev_b64 v[0:1], 2, v[4:5]
	v_add_u32_e32 v4, 0x4d, v28
	v_mad_u64_u32 v[2:3], s[0:1], s2, v4, 0
	v_add_u32_e32 v7, 0x54, v28
	v_add_co_u32_e32 v0, vcc, v14, v0
	v_mad_u64_u32 v[3:4], s[0:1], s3, v4, v[3:4]
	v_mad_u64_u32 v[4:5], s[0:1], s2, v7, 0
	v_addc_co_u32_e32 v1, vcc, v15, v1, vcc
	v_pack_b32_f16 v6, v30, v23
	global_store_dword v[0:1], v6, off
	v_lshlrev_b64 v[0:1], 2, v[2:3]
	v_mov_b32_e32 v2, v5
	v_mad_u64_u32 v[2:3], s[0:1], s3, v7, v[2:3]
	v_add_co_u32_e32 v0, vcc, v14, v0
	v_addc_co_u32_e32 v1, vcc, v15, v1, vcc
	v_pack_b32_f16 v3, v33, v31
	v_mov_b32_e32 v5, v2
	global_store_dword v[0:1], v3, off
	v_lshlrev_b64 v[0:1], 2, v[4:5]
	v_add_f16_e32 v12, v12, v16
	v_add_co_u32_e32 v0, vcc, v14, v0
	v_addc_co_u32_e32 v1, vcc, v15, v1, vcc
	v_pack_b32_f16 v2, v12, v8
	global_store_dword v[0:1], v2, off
	s_endpgm
	.section	.rodata,"a",@progbits
	.p2align	6, 0x0
	.amdhsa_kernel fft_rtc_fwd_len91_factors_7_13_wgs_247_tpt_13_half_ip_CI_sbrr_dirReg
		.amdhsa_group_segment_fixed_size 0
		.amdhsa_private_segment_fixed_size 0
		.amdhsa_kernarg_size 88
		.amdhsa_user_sgpr_count 6
		.amdhsa_user_sgpr_private_segment_buffer 1
		.amdhsa_user_sgpr_dispatch_ptr 0
		.amdhsa_user_sgpr_queue_ptr 0
		.amdhsa_user_sgpr_kernarg_segment_ptr 1
		.amdhsa_user_sgpr_dispatch_id 0
		.amdhsa_user_sgpr_flat_scratch_init 0
		.amdhsa_user_sgpr_private_segment_size 0
		.amdhsa_uses_dynamic_stack 0
		.amdhsa_system_sgpr_private_segment_wavefront_offset 0
		.amdhsa_system_sgpr_workgroup_id_x 1
		.amdhsa_system_sgpr_workgroup_id_y 0
		.amdhsa_system_sgpr_workgroup_id_z 0
		.amdhsa_system_sgpr_workgroup_info 0
		.amdhsa_system_vgpr_workitem_id 0
		.amdhsa_next_free_vgpr 93
		.amdhsa_next_free_sgpr 24
		.amdhsa_reserve_vcc 1
		.amdhsa_reserve_flat_scratch 0
		.amdhsa_float_round_mode_32 0
		.amdhsa_float_round_mode_16_64 0
		.amdhsa_float_denorm_mode_32 3
		.amdhsa_float_denorm_mode_16_64 3
		.amdhsa_dx10_clamp 1
		.amdhsa_ieee_mode 1
		.amdhsa_fp16_overflow 0
		.amdhsa_exception_fp_ieee_invalid_op 0
		.amdhsa_exception_fp_denorm_src 0
		.amdhsa_exception_fp_ieee_div_zero 0
		.amdhsa_exception_fp_ieee_overflow 0
		.amdhsa_exception_fp_ieee_underflow 0
		.amdhsa_exception_fp_ieee_inexact 0
		.amdhsa_exception_int_div_zero 0
	.end_amdhsa_kernel
	.text
.Lfunc_end0:
	.size	fft_rtc_fwd_len91_factors_7_13_wgs_247_tpt_13_half_ip_CI_sbrr_dirReg, .Lfunc_end0-fft_rtc_fwd_len91_factors_7_13_wgs_247_tpt_13_half_ip_CI_sbrr_dirReg
                                        ; -- End function
	.section	.AMDGPU.csdata,"",@progbits
; Kernel info:
; codeLenInByte = 6388
; NumSgprs: 28
; NumVgprs: 93
; ScratchSize: 0
; MemoryBound: 0
; FloatMode: 240
; IeeeMode: 1
; LDSByteSize: 0 bytes/workgroup (compile time only)
; SGPRBlocks: 3
; VGPRBlocks: 23
; NumSGPRsForWavesPerEU: 28
; NumVGPRsForWavesPerEU: 93
; Occupancy: 2
; WaveLimiterHint : 1
; COMPUTE_PGM_RSRC2:SCRATCH_EN: 0
; COMPUTE_PGM_RSRC2:USER_SGPR: 6
; COMPUTE_PGM_RSRC2:TRAP_HANDLER: 0
; COMPUTE_PGM_RSRC2:TGID_X_EN: 1
; COMPUTE_PGM_RSRC2:TGID_Y_EN: 0
; COMPUTE_PGM_RSRC2:TGID_Z_EN: 0
; COMPUTE_PGM_RSRC2:TIDIG_COMP_CNT: 0
	.type	__hip_cuid_69973bc29bb22fe,@object ; @__hip_cuid_69973bc29bb22fe
	.section	.bss,"aw",@nobits
	.globl	__hip_cuid_69973bc29bb22fe
__hip_cuid_69973bc29bb22fe:
	.byte	0                               ; 0x0
	.size	__hip_cuid_69973bc29bb22fe, 1

	.ident	"AMD clang version 19.0.0git (https://github.com/RadeonOpenCompute/llvm-project roc-6.4.0 25133 c7fe45cf4b819c5991fe208aaa96edf142730f1d)"
	.section	".note.GNU-stack","",@progbits
	.addrsig
	.addrsig_sym __hip_cuid_69973bc29bb22fe
	.amdgpu_metadata
---
amdhsa.kernels:
  - .args:
      - .actual_access:  read_only
        .address_space:  global
        .offset:         0
        .size:           8
        .value_kind:     global_buffer
      - .offset:         8
        .size:           8
        .value_kind:     by_value
      - .actual_access:  read_only
        .address_space:  global
        .offset:         16
        .size:           8
        .value_kind:     global_buffer
      - .actual_access:  read_only
        .address_space:  global
        .offset:         24
        .size:           8
        .value_kind:     global_buffer
      - .offset:         32
        .size:           8
        .value_kind:     by_value
      - .actual_access:  read_only
        .address_space:  global
        .offset:         40
        .size:           8
        .value_kind:     global_buffer
      - .actual_access:  read_only
        .address_space:  global
        .offset:         48
        .size:           8
        .value_kind:     global_buffer
      - .offset:         56
        .size:           4
        .value_kind:     by_value
      - .actual_access:  read_only
        .address_space:  global
        .offset:         64
        .size:           8
        .value_kind:     global_buffer
      - .actual_access:  read_only
        .address_space:  global
        .offset:         72
        .size:           8
        .value_kind:     global_buffer
      - .address_space:  global
        .offset:         80
        .size:           8
        .value_kind:     global_buffer
    .group_segment_fixed_size: 0
    .kernarg_segment_align: 8
    .kernarg_segment_size: 88
    .language:       OpenCL C
    .language_version:
      - 2
      - 0
    .max_flat_workgroup_size: 247
    .name:           fft_rtc_fwd_len91_factors_7_13_wgs_247_tpt_13_half_ip_CI_sbrr_dirReg
    .private_segment_fixed_size: 0
    .sgpr_count:     28
    .sgpr_spill_count: 0
    .symbol:         fft_rtc_fwd_len91_factors_7_13_wgs_247_tpt_13_half_ip_CI_sbrr_dirReg.kd
    .uniform_work_group_size: 1
    .uses_dynamic_stack: false
    .vgpr_count:     93
    .vgpr_spill_count: 0
    .wavefront_size: 64
amdhsa.target:   amdgcn-amd-amdhsa--gfx906
amdhsa.version:
  - 1
  - 2
...

	.end_amdgpu_metadata
